;; amdgpu-corpus repo=ROCm/rocFFT kind=compiled arch=gfx906 opt=O3
	.text
	.amdgcn_target "amdgcn-amd-amdhsa--gfx906"
	.amdhsa_code_object_version 6
	.protected	fft_rtc_fwd_len1536_factors_16_16_6_wgs_256_tpt_256_halfLds_dp_op_CI_CI_sbrr_dirReg ; -- Begin function fft_rtc_fwd_len1536_factors_16_16_6_wgs_256_tpt_256_halfLds_dp_op_CI_CI_sbrr_dirReg
	.globl	fft_rtc_fwd_len1536_factors_16_16_6_wgs_256_tpt_256_halfLds_dp_op_CI_CI_sbrr_dirReg
	.p2align	8
	.type	fft_rtc_fwd_len1536_factors_16_16_6_wgs_256_tpt_256_halfLds_dp_op_CI_CI_sbrr_dirReg,@function
fft_rtc_fwd_len1536_factors_16_16_6_wgs_256_tpt_256_halfLds_dp_op_CI_CI_sbrr_dirReg: ; @fft_rtc_fwd_len1536_factors_16_16_6_wgs_256_tpt_256_halfLds_dp_op_CI_CI_sbrr_dirReg
; %bb.0:
	s_load_dwordx4 s[16:19], s[4:5], 0x18
	s_load_dwordx4 s[12:15], s[4:5], 0x0
	;; [unrolled: 1-line block ×3, first 2 shown]
	v_mov_b32_e32 v1, 0
	v_mov_b32_e32 v13, 0
	s_waitcnt lgkmcnt(0)
	s_load_dwordx2 s[20:21], s[16:17], 0x0
	s_load_dwordx2 s[2:3], s[18:19], 0x0
	v_cmp_lt_u64_e64 s[0:1], s[14:15], 2
	v_mov_b32_e32 v3, s6
	v_mov_b32_e32 v4, v1
	s_and_b64 vcc, exec, s[0:1]
	v_mov_b32_e32 v14, 0
	s_cbranch_vccnz .LBB0_8
; %bb.1:
	s_load_dwordx2 s[0:1], s[4:5], 0x10
	s_add_u32 s6, s18, 8
	s_addc_u32 s7, s19, 0
	s_add_u32 s22, s16, 8
	v_mov_b32_e32 v13, 0
	s_addc_u32 s23, s17, 0
	v_mov_b32_e32 v14, 0
	s_waitcnt lgkmcnt(0)
	s_add_u32 s24, s0, 8
	v_mov_b32_e32 v70, v14
	s_addc_u32 s25, s1, 0
	s_mov_b64 s[26:27], 1
	v_mov_b32_e32 v69, v13
.LBB0_2:                                ; =>This Inner Loop Header: Depth=1
	s_load_dwordx2 s[28:29], s[24:25], 0x0
                                        ; implicit-def: $vgpr71_vgpr72
	s_waitcnt lgkmcnt(0)
	v_or_b32_e32 v2, s29, v4
	v_cmp_ne_u64_e32 vcc, 0, v[1:2]
	s_and_saveexec_b64 s[0:1], vcc
	s_xor_b64 s[30:31], exec, s[0:1]
	s_cbranch_execz .LBB0_4
; %bb.3:                                ;   in Loop: Header=BB0_2 Depth=1
	v_cvt_f32_u32_e32 v2, s28
	v_cvt_f32_u32_e32 v5, s29
	s_sub_u32 s0, 0, s28
	s_subb_u32 s1, 0, s29
	v_mac_f32_e32 v2, 0x4f800000, v5
	v_rcp_f32_e32 v2, v2
	v_mul_f32_e32 v2, 0x5f7ffffc, v2
	v_mul_f32_e32 v5, 0x2f800000, v2
	v_trunc_f32_e32 v5, v5
	v_mac_f32_e32 v2, 0xcf800000, v5
	v_cvt_u32_f32_e32 v5, v5
	v_cvt_u32_f32_e32 v2, v2
	v_mul_lo_u32 v6, s0, v5
	v_mul_hi_u32 v7, s0, v2
	v_mul_lo_u32 v9, s1, v2
	v_mul_lo_u32 v8, s0, v2
	v_add_u32_e32 v6, v7, v6
	v_add_u32_e32 v6, v6, v9
	v_mul_hi_u32 v7, v2, v8
	v_mul_lo_u32 v9, v2, v6
	v_mul_hi_u32 v11, v2, v6
	v_mul_hi_u32 v10, v5, v8
	v_mul_lo_u32 v8, v5, v8
	v_mul_hi_u32 v12, v5, v6
	v_add_co_u32_e32 v7, vcc, v7, v9
	v_addc_co_u32_e32 v9, vcc, 0, v11, vcc
	v_mul_lo_u32 v6, v5, v6
	v_add_co_u32_e32 v7, vcc, v7, v8
	v_addc_co_u32_e32 v7, vcc, v9, v10, vcc
	v_addc_co_u32_e32 v8, vcc, 0, v12, vcc
	v_add_co_u32_e32 v6, vcc, v7, v6
	v_addc_co_u32_e32 v7, vcc, 0, v8, vcc
	v_add_co_u32_e32 v2, vcc, v2, v6
	v_addc_co_u32_e32 v5, vcc, v5, v7, vcc
	v_mul_lo_u32 v6, s0, v5
	v_mul_hi_u32 v7, s0, v2
	v_mul_lo_u32 v8, s1, v2
	v_mul_lo_u32 v9, s0, v2
	v_add_u32_e32 v6, v7, v6
	v_add_u32_e32 v6, v6, v8
	v_mul_lo_u32 v10, v2, v6
	v_mul_hi_u32 v11, v2, v9
	v_mul_hi_u32 v12, v2, v6
	;; [unrolled: 1-line block ×3, first 2 shown]
	v_mul_lo_u32 v9, v5, v9
	v_mul_hi_u32 v7, v5, v6
	v_add_co_u32_e32 v10, vcc, v11, v10
	v_addc_co_u32_e32 v11, vcc, 0, v12, vcc
	v_mul_lo_u32 v6, v5, v6
	v_add_co_u32_e32 v9, vcc, v10, v9
	v_addc_co_u32_e32 v8, vcc, v11, v8, vcc
	v_addc_co_u32_e32 v7, vcc, 0, v7, vcc
	v_add_co_u32_e32 v6, vcc, v8, v6
	v_addc_co_u32_e32 v7, vcc, 0, v7, vcc
	v_add_co_u32_e32 v2, vcc, v2, v6
	v_addc_co_u32_e32 v7, vcc, v5, v7, vcc
	v_mad_u64_u32 v[5:6], s[0:1], v3, v7, 0
	v_mul_hi_u32 v8, v3, v2
	v_add_co_u32_e32 v9, vcc, v8, v5
	v_addc_co_u32_e32 v10, vcc, 0, v6, vcc
	v_mad_u64_u32 v[5:6], s[0:1], v4, v2, 0
	v_mad_u64_u32 v[7:8], s[0:1], v4, v7, 0
	v_add_co_u32_e32 v2, vcc, v9, v5
	v_addc_co_u32_e32 v2, vcc, v10, v6, vcc
	v_addc_co_u32_e32 v5, vcc, 0, v8, vcc
	v_add_co_u32_e32 v2, vcc, v2, v7
	v_addc_co_u32_e32 v7, vcc, 0, v5, vcc
	v_mul_lo_u32 v8, s29, v2
	v_mul_lo_u32 v9, s28, v7
	v_mad_u64_u32 v[5:6], s[0:1], s28, v2, 0
	v_add3_u32 v6, v6, v9, v8
	v_sub_u32_e32 v8, v4, v6
	v_mov_b32_e32 v9, s29
	v_sub_co_u32_e32 v5, vcc, v3, v5
	v_subb_co_u32_e64 v8, s[0:1], v8, v9, vcc
	v_subrev_co_u32_e64 v9, s[0:1], s28, v5
	v_subbrev_co_u32_e64 v8, s[0:1], 0, v8, s[0:1]
	v_cmp_le_u32_e64 s[0:1], s29, v8
	v_cndmask_b32_e64 v10, 0, -1, s[0:1]
	v_cmp_le_u32_e64 s[0:1], s28, v9
	v_cndmask_b32_e64 v9, 0, -1, s[0:1]
	v_cmp_eq_u32_e64 s[0:1], s29, v8
	v_cndmask_b32_e64 v8, v10, v9, s[0:1]
	v_add_co_u32_e64 v9, s[0:1], 2, v2
	v_addc_co_u32_e64 v10, s[0:1], 0, v7, s[0:1]
	v_add_co_u32_e64 v11, s[0:1], 1, v2
	v_addc_co_u32_e64 v12, s[0:1], 0, v7, s[0:1]
	v_subb_co_u32_e32 v6, vcc, v4, v6, vcc
	v_cmp_ne_u32_e64 s[0:1], 0, v8
	v_cmp_le_u32_e32 vcc, s29, v6
	v_cndmask_b32_e64 v8, v12, v10, s[0:1]
	v_cndmask_b32_e64 v10, 0, -1, vcc
	v_cmp_le_u32_e32 vcc, s28, v5
	v_cndmask_b32_e64 v5, 0, -1, vcc
	v_cmp_eq_u32_e32 vcc, s29, v6
	v_cndmask_b32_e32 v5, v10, v5, vcc
	v_cmp_ne_u32_e32 vcc, 0, v5
	v_cndmask_b32_e64 v5, v11, v9, s[0:1]
	v_cndmask_b32_e32 v72, v7, v8, vcc
	v_cndmask_b32_e32 v71, v2, v5, vcc
.LBB0_4:                                ;   in Loop: Header=BB0_2 Depth=1
	s_andn2_saveexec_b64 s[0:1], s[30:31]
	s_cbranch_execz .LBB0_6
; %bb.5:                                ;   in Loop: Header=BB0_2 Depth=1
	v_cvt_f32_u32_e32 v2, s28
	s_sub_i32 s30, 0, s28
	v_mov_b32_e32 v72, v1
	v_rcp_iflag_f32_e32 v2, v2
	v_mul_f32_e32 v2, 0x4f7ffffe, v2
	v_cvt_u32_f32_e32 v2, v2
	v_mul_lo_u32 v5, s30, v2
	v_mul_hi_u32 v5, v2, v5
	v_add_u32_e32 v2, v2, v5
	v_mul_hi_u32 v2, v3, v2
	v_mul_lo_u32 v5, v2, s28
	v_add_u32_e32 v6, 1, v2
	v_sub_u32_e32 v5, v3, v5
	v_subrev_u32_e32 v7, s28, v5
	v_cmp_le_u32_e32 vcc, s28, v5
	v_cndmask_b32_e32 v5, v5, v7, vcc
	v_cndmask_b32_e32 v2, v2, v6, vcc
	v_add_u32_e32 v6, 1, v2
	v_cmp_le_u32_e32 vcc, s28, v5
	v_cndmask_b32_e32 v71, v2, v6, vcc
.LBB0_6:                                ;   in Loop: Header=BB0_2 Depth=1
	s_or_b64 exec, exec, s[0:1]
	v_mul_lo_u32 v2, v72, s28
	v_mul_lo_u32 v7, v71, s29
	v_mad_u64_u32 v[5:6], s[0:1], v71, s28, 0
	s_load_dwordx2 s[0:1], s[22:23], 0x0
	s_load_dwordx2 s[28:29], s[6:7], 0x0
	v_add3_u32 v2, v6, v7, v2
	v_sub_co_u32_e32 v3, vcc, v3, v5
	v_subb_co_u32_e32 v2, vcc, v4, v2, vcc
	s_waitcnt lgkmcnt(0)
	v_mul_lo_u32 v4, s0, v2
	v_mul_lo_u32 v5, s1, v3
	v_mad_u64_u32 v[13:14], s[0:1], s0, v3, v[13:14]
	v_mul_lo_u32 v2, s28, v2
	v_mul_lo_u32 v6, s29, v3
	v_mad_u64_u32 v[69:70], s[0:1], s28, v3, v[69:70]
	s_add_u32 s26, s26, 1
	s_addc_u32 s27, s27, 0
	s_add_u32 s6, s6, 8
	v_add3_u32 v70, v6, v70, v2
	s_addc_u32 s7, s7, 0
	v_mov_b32_e32 v2, s14
	s_add_u32 s22, s22, 8
	v_mov_b32_e32 v3, s15
	s_addc_u32 s23, s23, 0
	v_cmp_ge_u64_e32 vcc, s[26:27], v[2:3]
	s_add_u32 s24, s24, 8
	v_add3_u32 v14, v5, v14, v4
	s_addc_u32 s25, s25, 0
	s_cbranch_vccnz .LBB0_9
; %bb.7:                                ;   in Loop: Header=BB0_2 Depth=1
	v_mov_b32_e32 v3, v71
	v_mov_b32_e32 v4, v72
	s_branch .LBB0_2
.LBB0_8:
	v_mov_b32_e32 v70, v14
	v_mov_b32_e32 v72, v4
	;; [unrolled: 1-line block ×4, first 2 shown]
.LBB0_9:
	s_lshl_b64 s[22:23], s[14:15], 3
	s_load_dwordx2 s[0:1], s[4:5], 0x28
	s_add_u32 s4, s18, s22
	s_addc_u32 s5, s19, s23
	s_load_dwordx2 s[4:5], s[4:5], 0x0
	v_mov_b32_e32 v99, 0
	s_waitcnt lgkmcnt(0)
	v_cmp_gt_u64_e32 vcc, s[0:1], v[71:72]
                                        ; implicit-def: $vgpr21_vgpr22
                                        ; implicit-def: $vgpr51_vgpr52
                                        ; implicit-def: $vgpr11_vgpr12
                                        ; implicit-def: $vgpr25_vgpr26
                                        ; implicit-def: $vgpr29_vgpr30
                                        ; implicit-def: $vgpr7_vgpr8
                                        ; implicit-def: $vgpr35_vgpr36
                                        ; implicit-def: $vgpr63_vgpr64
                                        ; implicit-def: $vgpr43_vgpr44
                                        ; implicit-def: $vgpr67_vgpr68
                                        ; implicit-def: $vgpr47_vgpr48
                                        ; implicit-def: $vgpr39_vgpr40
                                        ; implicit-def: $vgpr59_vgpr60
                                        ; implicit-def: $vgpr55_vgpr56
                                        ; implicit-def: $vgpr3_vgpr4
                                        ; implicit-def: $vgpr17_vgpr18
	s_and_saveexec_b64 s[6:7], vcc
	s_cbranch_execz .LBB0_13
; %bb.10:
	s_movk_i32 s0, 0x60
	v_cmp_gt_u32_e64 s[0:1], s0, v0
                                        ; implicit-def: $vgpr15_vgpr16
                                        ; implicit-def: $vgpr1_vgpr2
                                        ; implicit-def: $vgpr53_vgpr54
                                        ; implicit-def: $vgpr57_vgpr58
                                        ; implicit-def: $vgpr37_vgpr38
                                        ; implicit-def: $vgpr45_vgpr46
                                        ; implicit-def: $vgpr65_vgpr66
                                        ; implicit-def: $vgpr41_vgpr42
                                        ; implicit-def: $vgpr61_vgpr62
                                        ; implicit-def: $vgpr33_vgpr34
                                        ; implicit-def: $vgpr5_vgpr6
                                        ; implicit-def: $vgpr27_vgpr28
                                        ; implicit-def: $vgpr23_vgpr24
                                        ; implicit-def: $vgpr9_vgpr10
                                        ; implicit-def: $vgpr49_vgpr50
                                        ; implicit-def: $vgpr19_vgpr20
	s_and_saveexec_b64 s[14:15], s[0:1]
	s_cbranch_execz .LBB0_12
; %bb.11:
	s_add_u32 s0, s16, s22
	s_addc_u32 s1, s17, s23
	s_load_dwordx2 s[0:1], s[0:1], 0x0
	v_mad_u64_u32 v[1:2], s[16:17], s20, v0, 0
	v_add_u32_e32 v9, 0x60, v0
	s_waitcnt lgkmcnt(0)
	v_mul_lo_u32 v7, s1, v71
	v_mul_lo_u32 v8, s0, v72
	v_mad_u64_u32 v[3:4], s[0:1], s0, v71, 0
	v_mad_u64_u32 v[5:6], s[0:1], s21, v0, v[2:3]
	v_add3_u32 v4, v4, v8, v7
	v_lshlrev_b64 v[3:4], 4, v[3:4]
	v_mov_b32_e32 v2, v5
	v_mov_b32_e32 v5, s9
	v_add_co_u32_e64 v7, s[0:1], s8, v3
	v_addc_co_u32_e64 v8, s[0:1], v5, v4, s[0:1]
	v_mad_u64_u32 v[5:6], s[0:1], s20, v9, 0
	v_lshlrev_b64 v[3:4], 4, v[13:14]
	v_lshlrev_b64 v[1:2], 4, v[1:2]
	v_add_co_u32_e64 v10, s[0:1], v7, v3
	v_mov_b32_e32 v3, v6
	v_addc_co_u32_e64 v11, s[0:1], v8, v4, s[0:1]
	v_mad_u64_u32 v[3:4], s[0:1], s21, v9, v[3:4]
	v_add_u32_e32 v4, 0xc0, v0
	v_mad_u64_u32 v[7:8], s[0:1], s20, v4, 0
	v_add_co_u32_e64 v13, s[0:1], v10, v1
	v_mov_b32_e32 v6, v3
	v_mov_b32_e32 v3, v8
	v_addc_co_u32_e64 v14, s[0:1], v11, v2, s[0:1]
	v_lshlrev_b64 v[1:2], 4, v[5:6]
	v_mad_u64_u32 v[3:4], s[0:1], s21, v4, v[3:4]
	v_add_u32_e32 v6, 0x120, v0
	v_mad_u64_u32 v[4:5], s[0:1], s20, v6, 0
	v_add_co_u32_e64 v31, s[0:1], v10, v1
	v_mov_b32_e32 v8, v3
	v_mov_b32_e32 v3, v5
	v_addc_co_u32_e64 v32, s[0:1], v11, v2, s[0:1]
	v_lshlrev_b64 v[1:2], 4, v[7:8]
	v_mad_u64_u32 v[5:6], s[0:1], s21, v6, v[3:4]
	v_or_b32_e32 v8, 0x180, v0
	v_mad_u64_u32 v[6:7], s[0:1], s20, v8, 0
	v_add_co_u32_e64 v57, s[0:1], v10, v1
	v_mov_b32_e32 v3, v7
	v_addc_co_u32_e64 v58, s[0:1], v11, v2, s[0:1]
	v_lshlrev_b64 v[1:2], 4, v[4:5]
	v_mad_u64_u32 v[3:4], s[0:1], s21, v8, v[3:4]
	v_add_u32_e32 v8, 0x1e0, v0
	v_mad_u64_u32 v[4:5], s[0:1], s20, v8, 0
	v_add_co_u32_e64 v59, s[0:1], v10, v1
	v_mov_b32_e32 v7, v3
	v_mov_b32_e32 v3, v5
	v_addc_co_u32_e64 v60, s[0:1], v11, v2, s[0:1]
	v_lshlrev_b64 v[1:2], 4, v[6:7]
	v_mad_u64_u32 v[5:6], s[0:1], s21, v8, v[3:4]
	v_add_u32_e32 v8, 0x240, v0
	v_mad_u64_u32 v[6:7], s[0:1], s20, v8, 0
	v_add_co_u32_e64 v73, s[0:1], v10, v1
	v_mov_b32_e32 v3, v7
	v_addc_co_u32_e64 v74, s[0:1], v11, v2, s[0:1]
	v_lshlrev_b64 v[1:2], 4, v[4:5]
	v_mad_u64_u32 v[3:4], s[0:1], s21, v8, v[3:4]
	v_add_u32_e32 v8, 0x2a0, v0
	v_mad_u64_u32 v[4:5], s[0:1], s20, v8, 0
	v_add_co_u32_e64 v75, s[0:1], v10, v1
	v_mov_b32_e32 v7, v3
	v_mov_b32_e32 v3, v5
	v_addc_co_u32_e64 v76, s[0:1], v11, v2, s[0:1]
	v_lshlrev_b64 v[1:2], 4, v[6:7]
	v_mad_u64_u32 v[5:6], s[0:1], s21, v8, v[3:4]
	v_or_b32_e32 v8, 0x300, v0
	v_mad_u64_u32 v[6:7], s[0:1], s20, v8, 0
	v_add_co_u32_e64 v77, s[0:1], v10, v1
	v_mov_b32_e32 v3, v7
	v_addc_co_u32_e64 v78, s[0:1], v11, v2, s[0:1]
	v_lshlrev_b64 v[1:2], 4, v[4:5]
	v_mad_u64_u32 v[3:4], s[0:1], s21, v8, v[3:4]
	v_add_u32_e32 v8, 0x360, v0
	v_mad_u64_u32 v[4:5], s[0:1], s20, v8, 0
	v_add_co_u32_e64 v79, s[0:1], v10, v1
	v_mov_b32_e32 v7, v3
	v_mov_b32_e32 v3, v5
	v_addc_co_u32_e64 v80, s[0:1], v11, v2, s[0:1]
	v_lshlrev_b64 v[1:2], 4, v[6:7]
	v_mad_u64_u32 v[5:6], s[0:1], s21, v8, v[3:4]
	v_add_u32_e32 v8, 0x3c0, v0
	v_mad_u64_u32 v[6:7], s[0:1], s20, v8, 0
	v_add_co_u32_e64 v81, s[0:1], v10, v1
	;; [unrolled: 30-line block ×3, first 2 shown]
	v_mov_b32_e32 v3, v7
	v_addc_co_u32_e64 v90, s[0:1], v11, v2, s[0:1]
	v_lshlrev_b64 v[1:2], 4, v[4:5]
	v_mad_u64_u32 v[3:4], s[0:1], s21, v8, v[3:4]
	v_add_u32_e32 v8, 0x5a0, v0
	v_mad_u64_u32 v[4:5], s[0:1], s20, v8, 0
	v_add_co_u32_e64 v91, s[0:1], v10, v1
	v_mov_b32_e32 v7, v3
	v_mov_b32_e32 v3, v5
	v_addc_co_u32_e64 v92, s[0:1], v11, v2, s[0:1]
	v_lshlrev_b64 v[1:2], 4, v[6:7]
	v_mad_u64_u32 v[5:6], s[0:1], s21, v8, v[3:4]
	v_add_co_u32_e64 v93, s[0:1], v10, v1
	v_addc_co_u32_e64 v94, s[0:1], v11, v2, s[0:1]
	v_lshlrev_b64 v[1:2], 4, v[4:5]
	v_add_co_u32_e64 v95, s[0:1], v10, v1
	v_addc_co_u32_e64 v96, s[0:1], v11, v2, s[0:1]
	global_load_dwordx4 v[15:18], v[13:14], off
	global_load_dwordx4 v[19:22], v[31:32], off
	;; [unrolled: 1-line block ×15, first 2 shown]
                                        ; kill: killed $vgpr85 killed $vgpr86
                                        ; kill: killed $vgpr57 killed $vgpr58
                                        ; kill: killed $vgpr87 killed $vgpr88
                                        ; kill: killed $vgpr59 killed $vgpr60
                                        ; kill: killed $vgpr89 killed $vgpr90
                                        ; kill: killed $vgpr73 killed $vgpr74
                                        ; kill: killed $vgpr91 killed $vgpr92
                                        ; kill: killed $vgpr75 killed $vgpr76
                                        ; kill: killed $vgpr93 killed $vgpr94
                                        ; kill: killed $vgpr77 killed $vgpr78
                                        ; kill: killed $vgpr79 killed $vgpr80
                                        ; kill: killed $vgpr81 killed $vgpr82
                                        ; kill: killed $vgpr13 killed $vgpr14
                                        ; kill: killed $vgpr83 killed $vgpr84
                                        ; kill: killed $vgpr31 killed $vgpr32
	global_load_dwordx4 v[57:60], v[95:96], off
.LBB0_12:
	s_or_b64 exec, exec, s[14:15]
	v_mov_b32_e32 v99, v0
.LBB0_13:
	s_or_b64 exec, exec, s[6:7]
	s_waitcnt vmcnt(5)
	v_add_f64 v[31:32], v[51:52], -v[63:64]
	v_add_f64 v[55:56], v[21:22], -v[55:56]
	s_waitcnt vmcnt(4)
	v_add_f64 v[43:44], v[11:12], -v[43:44]
	s_waitcnt vmcnt(0)
	v_add_f64 v[57:58], v[5:6], -v[57:58]
	v_add_f64 v[45:46], v[27:28], -v[45:46]
	;; [unrolled: 1-line block ×6, first 2 shown]
	v_fma_f64 v[47:48], v[51:52], 2.0, -v[31:32]
	v_add_f64 v[41:42], v[9:10], -v[41:42]
	v_add_f64 v[51:52], v[7:8], -v[59:60]
	v_add_f64 v[73:74], v[43:44], v[57:58]
	v_add_f64 v[89:90], v[45:46], v[55:56]
	v_add_f64 v[63:64], v[25:26], -v[67:68]
	v_add_f64 v[37:38], v[1:2], -v[37:38]
	;; [unrolled: 1-line block ×6, first 2 shown]
	v_fma_f64 v[11:12], v[11:12], 2.0, -v[43:44]
	v_fma_f64 v[43:44], v[43:44], 2.0, -v[73:74]
	;; [unrolled: 1-line block ×3, first 2 shown]
	s_mov_b32 s6, 0x667f3bcd
	s_mov_b32 s7, 0x3fe6a09e
	;; [unrolled: 1-line block ×4, first 2 shown]
	v_fma_f64 v[49:50], v[49:50], 2.0, -v[13:14]
	v_fma_f64 v[19:20], v[19:20], 2.0, -v[53:54]
	v_fma_f64 v[21:22], v[21:22], 2.0, -v[55:56]
	v_fma_f64 v[27:28], v[27:28], 2.0, -v[45:46]
	v_fma_f64 v[9:10], v[9:10], 2.0, -v[41:42]
	v_fma_f64 v[53:54], v[53:54], 2.0, -v[59:60]
	v_fma_f64 v[41:42], v[41:42], 2.0, -v[67:68]
	v_add_f64 v[87:88], v[33:34], -v[63:64]
	v_add_f64 v[75:76], v[13:14], -v[39:40]
	v_fma_f64 v[1:2], v[1:2], 2.0, -v[37:38]
	v_fma_f64 v[55:56], v[43:44], s[0:1], v[85:86]
	v_fma_f64 v[5:6], v[5:6], 2.0, -v[57:58]
	v_fma_f64 v[15:16], v[15:16], 2.0, -v[33:34]
	;; [unrolled: 1-line block ×3, first 2 shown]
	v_fma_f64 v[45:46], v[41:42], s[0:1], v[53:54]
	v_fma_f64 v[7:8], v[7:8], 2.0, -v[51:52]
	v_fma_f64 v[33:34], v[33:34], 2.0, -v[87:88]
	v_add_f64 v[77:78], v[31:32], v[37:38]
	v_fma_f64 v[79:80], v[13:14], 2.0, -v[75:76]
	v_add_f64 v[51:52], v[49:50], -v[1:2]
	v_add_f64 v[1:2], v[19:20], -v[27:28]
	v_fma_f64 v[3:4], v[3:4], 2.0, -v[39:40]
	v_fma_f64 v[13:14], v[67:68], s[6:7], v[59:60]
	v_fma_f64 v[37:38], v[41:42], s[6:7], v[55:56]
	;; [unrolled: 1-line block ×3, first 2 shown]
	v_add_f64 v[5:6], v[9:10], -v[5:6]
	v_fma_f64 v[29:30], v[29:30], 2.0, -v[65:66]
	v_add_f64 v[23:24], v[15:16], -v[23:24]
	v_fma_f64 v[81:82], v[31:32], 2.0, -v[77:78]
	v_fma_f64 v[27:28], v[79:80], s[0:1], v[33:34]
	v_fma_f64 v[31:32], v[49:50], 2.0, -v[51:52]
	v_fma_f64 v[39:40], v[19:20], 2.0, -v[1:2]
	v_fma_f64 v[19:20], v[43:44], s[0:1], v[45:46]
	v_fma_f64 v[49:50], v[73:74], s[6:7], v[89:90]
	;; [unrolled: 1-line block ×3, first 2 shown]
	v_add_f64 v[65:66], v[47:48], -v[3:4]
	v_add_f64 v[3:4], v[11:12], -v[7:8]
	v_fma_f64 v[93:94], v[77:78], s[0:1], v[41:42]
	v_fma_f64 v[9:10], v[9:10], 2.0, -v[5:6]
	v_fma_f64 v[15:16], v[15:16], 2.0, -v[23:24]
	v_fma_f64 v[27:28], v[81:82], s[0:1], v[27:28]
	v_fma_f64 v[49:50], v[67:68], s[6:7], v[49:50]
	v_fma_f64 v[55:56], v[53:54], 2.0, -v[19:20]
	v_add_f64 v[13:14], v[21:22], -v[29:30]
	v_add_f64 v[83:84], v[1:2], -v[3:4]
	v_fma_f64 v[29:30], v[87:88], 2.0, -v[93:94]
	v_fma_f64 v[53:54], v[59:60], 2.0, -v[45:46]
	v_add_f64 v[43:44], v[39:40], -v[9:10]
	v_add_f64 v[95:96], v[23:24], -v[65:66]
	s_mov_b32 s8, 0xa6aea964
	s_mov_b32 s9, 0xbfd87de2
	;; [unrolled: 1-line block ×4, first 2 shown]
	v_add_f64 v[31:32], v[15:16], -v[31:32]
	v_fma_f64 v[7:8], v[33:34], 2.0, -v[27:28]
	v_fma_f64 v[57:58], v[85:86], 2.0, -v[37:38]
	v_add_f64 v[85:86], v[5:6], v[13:14]
	v_fma_f64 v[87:88], v[1:2], 2.0, -v[83:84]
	v_fma_f64 v[59:60], v[89:90], 2.0, -v[49:50]
	v_fma_f64 v[1:2], v[53:54], s[8:9], v[29:30]
	v_fma_f64 v[5:6], v[19:20], s[14:15], v[27:28]
	v_fma_f64 v[9:10], v[39:40], 2.0, -v[43:44]
	v_fma_f64 v[39:40], v[23:24], 2.0, -v[95:96]
	v_fma_f64 v[67:68], v[21:22], 2.0, -v[13:14]
	v_fma_f64 v[3:4], v[11:12], 2.0, -v[3:4]
	s_mov_b32 s15, 0xbfed906b
	s_mov_b32 s14, 0xcf328d46
	v_fma_f64 v[33:34], v[15:16], 2.0, -v[31:32]
	v_fma_f64 v[21:22], v[55:56], s[14:15], v[7:8]
	v_fma_f64 v[15:16], v[59:60], s[14:15], v[1:2]
	;; [unrolled: 1-line block ×3, first 2 shown]
	s_mov_b32 s15, 0x3fed906b
	v_fma_f64 v[91:92], v[13:14], 2.0, -v[85:86]
	v_fma_f64 v[13:14], v[87:88], s[0:1], v[39:40]
	v_add_f64 v[73:74], v[67:68], -v[3:4]
	v_fma_f64 v[5:6], v[83:84], s[6:7], v[95:96]
	v_fma_f64 v[23:24], v[45:46], s[14:15], v[93:94]
	v_add_f64 v[1:2], v[33:34], -v[9:10]
	v_fma_f64 v[3:4], v[57:58], s[8:9], v[21:22]
	v_fma_f64 v[41:42], v[29:30], 2.0, -v[15:16]
	v_lshl_add_u32 v100, v0, 7, 0
	v_fma_f64 v[13:14], v[91:92], s[0:1], v[13:14]
	v_add_f64 v[9:10], v[31:32], -v[73:74]
	v_fma_f64 v[21:22], v[85:86], s[0:1], v[5:6]
	v_fma_f64 v[23:24], v[49:50], s[8:9], v[23:24]
	v_fma_f64 v[5:6], v[33:34], 2.0, -v[1:2]
	v_fma_f64 v[7:8], v[7:8], 2.0, -v[3:4]
	;; [unrolled: 1-line block ×3, first 2 shown]
	s_movk_i32 s0, 0x60
	v_fma_f64 v[39:40], v[39:40], 2.0, -v[13:14]
	v_fma_f64 v[31:32], v[31:32], 2.0, -v[9:10]
	;; [unrolled: 1-line block ×4, first 2 shown]
	v_cmp_gt_u32_e64 s[0:1], s0, v0
	s_and_saveexec_b64 s[8:9], s[0:1]
	s_cbranch_execz .LBB0_15
; %bb.14:
	ds_write_b128 v100, v[5:8]
	ds_write_b128 v100, v[39:42] offset:16
	ds_write_b128 v100, v[31:34] offset:32
	;; [unrolled: 1-line block ×7, first 2 shown]
.LBB0_15:
	s_or_b64 exec, exec, s[8:9]
	v_mul_f64 v[89:90], v[79:80], s[6:7]
	v_mul_f64 v[95:96], v[81:82], s[6:7]
	;; [unrolled: 1-line block ×8, first 2 shown]
	v_lshl_add_u32 v83, v0, 3, 0
	s_waitcnt lgkmcnt(0)
	s_barrier
	s_and_saveexec_b64 s[6:7], s[0:1]
	s_cbranch_execz .LBB0_17
; %bb.16:
	v_add_u32_e32 v1, 0x400, v83
	ds_read2_b64 v[39:42], v1 offset0:64 offset1:160
	v_add_u32_e32 v1, 0x800, v83
	ds_read2_b64 v[31:34], v1 offset0:128 offset1:224
	;; [unrolled: 2-line block ×5, first 2 shown]
	v_add_u32_e32 v1, 0x2400, v83
	ds_read2_b64 v[5:8], v83 offset1:96
	ds_read2_b64 v[101:104], v1 offset0:96 offset1:192
	ds_read_b64 v[1:2], v83 offset:6144
	ds_read_b64 v[23:24], v83 offset:11520
	s_waitcnt lgkmcnt(5)
	v_mov_b32_e32 v13, v86
	s_waitcnt lgkmcnt(4)
	v_mov_b32_e32 v16, v10
	v_mov_b32_e32 v15, v9
	;; [unrolled: 1-line block ×4, first 2 shown]
	s_waitcnt lgkmcnt(2)
	v_mov_b32_e32 v11, v101
	v_mov_b32_e32 v21, v103
	;; [unrolled: 1-line block ×7, first 2 shown]
.LBB0_17:
	s_or_b64 exec, exec, s[6:7]
	v_add_f64 v[35:36], v[17:18], -v[35:36]
	v_fma_f64 v[25:26], v[25:26], 2.0, -v[63:64]
	v_fma_f64 v[47:48], v[47:48], 2.0, -v[65:66]
	s_mov_b32 s7, 0xbfed906b
	s_mov_b32 s6, 0xcf328d46
	;; [unrolled: 1-line block ×5, first 2 shown]
	v_add_f64 v[61:62], v[61:62], v[35:36]
	v_fma_f64 v[17:18], v[17:18], 2.0, -v[35:36]
	s_mov_b32 s14, s8
	s_waitcnt lgkmcnt(0)
	s_barrier
	v_fma_f64 v[35:36], v[35:36], 2.0, -v[61:62]
	v_add_f64 v[25:26], v[17:18], -v[25:26]
	v_add_f64 v[63:64], v[61:62], v[97:98]
	v_add_f64 v[84:85], v[35:36], -v[95:96]
	v_add_f64 v[86:87], v[51:52], v[25:26]
	v_fma_f64 v[51:52], v[67:68], 2.0, -v[73:74]
	v_fma_f64 v[17:18], v[17:18], 2.0, -v[25:26]
	v_add_f64 v[91:92], v[93:94], v[63:64]
	v_add_f64 v[67:68], v[89:90], v[84:85]
	v_fma_f64 v[25:26], v[25:26], 2.0, -v[86:87]
	v_add_f64 v[65:66], v[81:82], v[86:87]
	v_add_f64 v[63:64], v[17:18], -v[47:48]
	v_fma_f64 v[61:62], v[61:62], 2.0, -v[91:92]
	v_fma_f64 v[73:74], v[35:36], 2.0, -v[67:68]
	v_add_f64 v[79:80], v[25:26], -v[79:80]
	v_fma_f64 v[37:38], v[37:38], s[8:9], v[67:68]
	v_fma_f64 v[17:18], v[17:18], 2.0, -v[63:64]
	v_fma_f64 v[59:60], v[59:60], s[14:15], v[61:62]
	v_add_f64 v[47:48], v[43:44], v[63:64]
	v_add_f64 v[43:44], v[75:76], v[65:66]
	v_fma_f64 v[57:58], v[57:58], s[6:7], v[73:74]
	s_mov_b32 s7, 0x3fed906b
	v_fma_f64 v[81:82], v[49:50], s[6:7], v[91:92]
	v_add_f64 v[35:36], v[17:18], -v[51:52]
	v_add_f64 v[51:52], v[77:78], v[79:80]
	v_fma_f64 v[53:54], v[53:54], s[6:7], v[59:60]
	v_fma_f64 v[49:50], v[19:20], s[6:7], v[37:38]
	v_fma_f64 v[59:60], v[63:64], 2.0, -v[47:48]
	v_fma_f64 v[37:38], v[55:56], s[8:9], v[57:58]
	v_fma_f64 v[55:56], v[86:87], 2.0, -v[43:44]
	;; [unrolled: 2-line block ×3, first 2 shown]
	v_fma_f64 v[63:64], v[25:26], 2.0, -v[51:52]
	v_fma_f64 v[65:66], v[61:62], 2.0, -v[53:54]
	;; [unrolled: 1-line block ×5, first 2 shown]
	s_and_saveexec_b64 s[6:7], s[0:1]
	s_cbranch_execz .LBB0_19
; %bb.18:
	ds_write_b128 v100, v[17:20]
	ds_write_b128 v100, v[63:66] offset:16
	ds_write_b128 v100, v[59:62] offset:32
	ds_write_b128 v100, v[55:58] offset:48
	ds_write_b128 v100, v[35:38] offset:64
	ds_write_b128 v100, v[51:54] offset:80
	ds_write_b128 v100, v[47:50] offset:96
	ds_write_b128 v100, v[43:46] offset:112
.LBB0_19:
	s_or_b64 exec, exec, s[6:7]
	s_waitcnt lgkmcnt(0)
	s_barrier
	s_and_saveexec_b64 s[6:7], s[0:1]
	s_cbranch_execz .LBB0_21
; %bb.20:
	v_add_u32_e32 v25, 0x400, v83
	ds_read2_b64 v[63:66], v25 offset0:64 offset1:160
	v_add_u32_e32 v25, 0x800, v83
	ds_read2_b64 v[59:62], v25 offset0:128 offset1:224
	v_add_u32_e32 v25, 0x1000, v83
	ds_read2_b64 v[55:58], v25 offset0:64 offset1:160
	v_add_u32_e32 v25, 0x1800, v83
	ds_read2_b64 v[73:76], v25 offset0:96 offset1:192
	v_add_u32_e32 v25, 0x2000, v83
	ds_read2_b64 v[47:50], v25 offset0:32 offset1:128
	v_add_u32_e32 v25, 0x2400, v83
	ds_read2_b64 v[17:20], v83 offset1:96
	ds_read2_b64 v[77:80], v25 offset0:96 offset1:192
	ds_read_b64 v[35:36], v83 offset:6144
	ds_read_b64 v[45:46], v83 offset:11520
	s_waitcnt lgkmcnt(5)
	v_mov_b32_e32 v51, v75
	s_waitcnt lgkmcnt(4)
	v_mov_b32_e32 v54, v48
	v_mov_b32_e32 v53, v47
	;; [unrolled: 1-line block ×4, first 2 shown]
	s_waitcnt lgkmcnt(2)
	v_mov_b32_e32 v49, v77
	v_mov_b32_e32 v43, v79
	v_mov_b32_e32 v37, v73
	v_mov_b32_e32 v52, v76
	v_mov_b32_e32 v50, v78
	v_mov_b32_e32 v44, v80
	v_mov_b32_e32 v38, v74
.LBB0_21:
	s_or_b64 exec, exec, s[6:7]
	v_and_b32_e32 v79, 15, v0
	v_mul_u32_u24_e32 v25, 15, v79
	v_lshlrev_b32_e32 v82, 4, v25
	global_load_dwordx4 v[73:76], v82, s[12:13] offset:16
	global_load_dwordx4 v[84:87], v82, s[12:13] offset:32
	;; [unrolled: 1-line block ×5, first 2 shown]
	global_load_dwordx4 v[104:107], v82, s[12:13]
	global_load_dwordx4 v[108:111], v82, s[12:13] offset:96
	global_load_dwordx4 v[112:115], v82, s[12:13] offset:128
	;; [unrolled: 1-line block ×6, first 2 shown]
	s_mov_b32 s6, 0x667f3bcd
	s_mov_b32 s7, 0x3fe6a09e
	;; [unrolled: 1-line block ×4, first 2 shown]
	global_load_dwordx4 v[132:135], v82, s[12:13] offset:224
	s_waitcnt vmcnt(12)
	v_mul_f64 v[25:26], v[63:64], v[75:76]
	v_mul_f64 v[67:68], v[39:40], v[75:76]
	s_waitcnt vmcnt(11)
	v_mul_f64 v[77:78], v[65:66], v[86:87]
	v_fma_f64 v[80:81], v[39:40], v[73:74], -v[25:26]
	v_fma_f64 v[63:64], v[63:64], v[73:74], v[67:68]
	global_load_dwordx4 v[73:76], v82, s[12:13] offset:208
	v_mul_f64 v[25:26], v[41:42], v[86:87]
	s_waitcnt vmcnt(11)
	v_mul_f64 v[39:40], v[31:32], v[90:91]
	v_fma_f64 v[67:68], v[41:42], v[84:85], -v[77:78]
	s_waitcnt vmcnt(10)
	v_mul_f64 v[86:87], v[33:34], v[94:95]
	s_waitcnt vmcnt(3)
	v_mul_f64 v[96:97], v[47:48], v[126:127]
	v_fma_f64 v[65:66], v[65:66], v[84:85], v[25:26]
	v_mul_f64 v[25:26], v[59:60], v[90:91]
	v_mul_f64 v[84:85], v[61:62], v[94:95]
	v_fma_f64 v[61:62], v[61:62], v[92:93], v[86:87]
	v_mul_f64 v[86:87], v[57:58], v[110:111]
	v_mul_f64 v[90:91], v[29:30], v[110:111]
	;; [unrolled: 1-line block ×3, first 2 shown]
	v_fma_f64 v[77:78], v[31:32], v[88:89], -v[25:26]
	v_fma_f64 v[25:26], v[59:60], v[88:89], v[39:40]
	global_load_dwordx4 v[39:42], v82, s[12:13] offset:112
	v_mul_f64 v[31:32], v[55:56], v[102:103]
	v_mul_f64 v[59:60], v[27:28], v[102:103]
	v_fma_f64 v[33:34], v[33:34], v[92:93], -v[84:85]
	v_mul_f64 v[84:85], v[19:20], v[106:107]
	v_mul_f64 v[88:89], v[7:8], v[106:107]
	;; [unrolled: 1-line block ×3, first 2 shown]
	v_fma_f64 v[29:30], v[29:30], v[108:109], -v[86:87]
	v_mul_f64 v[86:87], v[13:14], v[118:119]
	v_fma_f64 v[31:32], v[27:28], v[100:101], -v[31:32]
	v_fma_f64 v[55:56], v[55:56], v[100:101], v[59:60]
	v_mul_f64 v[27:28], v[3:4], v[114:115]
	v_mul_f64 v[59:60], v[51:52], v[118:119]
	v_fma_f64 v[57:58], v[57:58], v[108:109], v[90:91]
	v_mul_f64 v[90:91], v[15:16], v[122:123]
	v_mul_f64 v[100:101], v[9:10], v[126:127]
	s_waitcnt vmcnt(3)
	v_mul_f64 v[102:103], v[49:50], v[130:131]
	v_fma_f64 v[7:8], v[7:8], v[104:105], -v[84:85]
	v_fma_f64 v[19:20], v[19:20], v[104:105], v[88:89]
	v_mul_f64 v[84:85], v[11:12], v[130:131]
	v_fma_f64 v[27:28], v[37:38], v[112:113], v[27:28]
	v_fma_f64 v[13:14], v[13:14], v[116:117], -v[59:60]
	v_fma_f64 v[3:4], v[3:4], v[112:113], -v[92:93]
	v_fma_f64 v[51:52], v[51:52], v[116:117], v[86:87]
	v_fma_f64 v[15:16], v[15:16], v[120:121], -v[94:95]
	v_fma_f64 v[53:54], v[53:54], v[120:121], v[90:91]
	;; [unrolled: 2-line block ×4, first 2 shown]
	s_waitcnt vmcnt(0) lgkmcnt(0)
	s_barrier
	v_add_f64 v[15:16], v[67:68], -v[15:16]
	v_mul_f64 v[59:60], v[23:24], v[134:135]
	v_add_f64 v[11:12], v[33:34], -v[11:12]
	v_add_f64 v[49:50], v[61:62], -v[49:50]
	v_fma_f64 v[33:34], v[33:34], 2.0, -v[11:12]
	v_mul_f64 v[88:89], v[43:44], v[75:76]
	v_mul_f64 v[37:38], v[21:22], v[75:76]
	;; [unrolled: 1-line block ×3, first 2 shown]
	v_fma_f64 v[45:46], v[45:46], v[132:133], v[59:60]
	v_add_f64 v[59:60], v[19:20], -v[27:28]
	v_fma_f64 v[84:85], v[21:22], v[73:74], -v[88:89]
	v_fma_f64 v[37:38], v[43:44], v[73:74], v[37:38]
	v_fma_f64 v[43:44], v[23:24], v[132:133], -v[75:76]
	v_add_f64 v[21:22], v[77:78], -v[9:10]
	v_add_f64 v[23:24], v[25:26], -v[47:48]
	;; [unrolled: 1-line block ×10, first 2 shown]
	v_fma_f64 v[3:4], v[80:81], 2.0, -v[9:10]
	v_fma_f64 v[19:20], v[19:20], 2.0, -v[59:60]
	v_fma_f64 v[7:8], v[7:8], 2.0, -v[51:52]
	v_fma_f64 v[31:32], v[31:32], 2.0, -v[47:48]
	v_fma_f64 v[53:54], v[55:56], 2.0, -v[37:38]
	v_fma_f64 v[55:56], v[61:62], 2.0, -v[49:50]
	v_fma_f64 v[61:62], v[67:68], 2.0, -v[15:16]
	v_fma_f64 v[65:66], v[65:66], 2.0, -v[73:74]
	v_fma_f64 v[29:30], v[29:30], 2.0, -v[43:44]
	v_fma_f64 v[57:58], v[57:58], 2.0, -v[45:46]
	v_add_f64 v[37:38], v[9:10], -v[37:38]
	v_add_f64 v[47:48], v[13:14], v[47:48]
	v_add_f64 v[80:81], v[51:52], -v[49:50]
	v_add_f64 v[11:12], v[59:60], v[11:12]
	;; [unrolled: 2-line block ×3, first 2 shown]
	v_fma_f64 v[27:28], v[63:64], 2.0, -v[13:14]
	v_add_f64 v[45:46], v[3:4], -v[31:32]
	v_fma_f64 v[9:10], v[9:10], 2.0, -v[37:38]
	v_fma_f64 v[13:14], v[13:14], 2.0, -v[47:48]
	v_add_f64 v[75:76], v[7:8], -v[33:34]
	v_add_f64 v[55:56], v[19:20], -v[55:56]
	;; [unrolled: 1-line block ×4, first 2 shown]
	v_fma_f64 v[51:52], v[51:52], 2.0, -v[80:81]
	v_fma_f64 v[57:58], v[59:60], 2.0, -v[11:12]
	v_fma_f64 v[33:34], v[15:16], 2.0, -v[49:50]
	v_fma_f64 v[15:16], v[73:74], 2.0, -v[43:44]
	v_fma_f64 v[86:87], v[43:44], s[6:7], v[11:12]
	v_fma_f64 v[63:64], v[19:20], 2.0, -v[55:56]
	v_fma_f64 v[59:60], v[61:62], 2.0, -v[29:30]
	;; [unrolled: 1-line block ×3, first 2 shown]
	v_mul_f64 v[61:62], v[9:10], s[6:7]
	v_mul_f64 v[65:66], v[13:14], s[6:7]
	v_fma_f64 v[9:10], v[33:34], s[8:9], v[51:52]
	v_fma_f64 v[13:14], v[15:16], s[8:9], v[57:58]
	;; [unrolled: 1-line block ×3, first 2 shown]
	v_add_f64 v[88:89], v[75:76], -v[31:32]
	v_add_f64 v[90:91], v[55:56], v[29:30]
	v_fma_f64 v[7:8], v[7:8], 2.0, -v[75:76]
	v_fma_f64 v[31:32], v[49:50], s[6:7], v[86:87]
	v_add_f64 v[53:54], v[27:28], -v[53:54]
	v_fma_f64 v[15:16], v[15:16], s[8:9], v[9:10]
	v_fma_f64 v[33:34], v[33:34], s[6:7], v[13:14]
	;; [unrolled: 1-line block ×3, first 2 shown]
	v_fma_f64 v[9:10], v[75:76], 2.0, -v[88:89]
	v_fma_f64 v[13:14], v[55:56], 2.0, -v[90:91]
	v_mul_f64 v[67:68], v[37:38], s[6:7]
	v_mul_f64 v[73:74], v[47:48], s[6:7]
	v_add_f64 v[37:38], v[7:8], -v[59:60]
	v_add_f64 v[75:76], v[63:64], -v[84:85]
	v_fma_f64 v[29:30], v[51:52], 2.0, -v[15:16]
	v_fma_f64 v[49:50], v[57:58], 2.0, -v[33:34]
	;; [unrolled: 1-line block ×4, first 2 shown]
	v_mul_f64 v[47:48], v[9:10], s[6:7]
	v_mul_f64 v[57:58], v[13:14], s[6:7]
	;; [unrolled: 1-line block ×4, first 2 shown]
	v_lshlrev_b32_e32 v80, 4, v0
	s_and_saveexec_b64 s[6:7], s[0:1]
	s_cbranch_execz .LBB0_23
; %bb.22:
	v_mul_f64 v[9:10], v[35:36], v[41:42]
	v_fma_f64 v[13:14], v[77:78], 2.0, -v[21:22]
	v_fma_f64 v[3:4], v[3:4], 2.0, -v[45:46]
	s_mov_b32 s9, 0x3fed906b
	s_mov_b32 s8, 0xcf328d46
	;; [unrolled: 1-line block ×5, first 2 shown]
	v_fma_f64 v[9:10], v[1:2], v[39:40], -v[9:10]
	s_mov_b32 s16, s14
	v_fma_f64 v[7:8], v[7:8], 2.0, -v[37:38]
	s_movk_i32 s18, 0x700
	v_and_or_b32 v98, v80, s18, v79
	v_lshl_add_u32 v98, v98, 3, 0
	v_add_f64 v[9:10], v[5:6], -v[9:10]
	v_add_f64 v[11:12], v[9:10], -v[23:24]
	v_fma_f64 v[5:6], v[5:6], 2.0, -v[9:10]
	v_fma_f64 v[9:10], v[9:10], 2.0, -v[11:12]
	v_add_f64 v[77:78], v[11:12], v[67:68]
	v_add_f64 v[13:14], v[5:6], -v[13:14]
	v_add_f64 v[81:82], v[9:10], -v[61:62]
	;; [unrolled: 1-line block ×4, first 2 shown]
	v_fma_f64 v[5:6], v[5:6], 2.0, -v[13:14]
	v_add_f64 v[81:82], v[81:82], -v[65:66]
	v_fma_f64 v[11:12], v[11:12], 2.0, -v[77:78]
	v_fma_f64 v[13:14], v[13:14], 2.0, -v[84:85]
	v_add_f64 v[3:4], v[5:6], -v[3:4]
	v_fma_f64 v[86:87], v[19:20], s[8:9], v[77:78]
	v_add_f64 v[88:89], v[84:85], v[51:52]
	s_mov_b32 s9, 0xbfed906b
	v_fma_f64 v[9:10], v[9:10], 2.0, -v[81:82]
	v_fma_f64 v[90:91], v[43:44], s[14:15], v[11:12]
	v_add_f64 v[92:93], v[13:14], -v[47:48]
	v_fma_f64 v[94:95], v[15:16], s[16:17], v[81:82]
	v_fma_f64 v[5:6], v[5:6], 2.0, -v[3:4]
	v_fma_f64 v[86:87], v[31:32], s[14:15], v[86:87]
	v_add_f64 v[88:89], v[88:89], -v[59:60]
	v_add_f64 v[100:101], v[3:4], -v[75:76]
	v_fma_f64 v[96:97], v[29:30], s[8:9], v[9:10]
	v_fma_f64 v[90:91], v[55:56], s[8:9], v[90:91]
	v_add_f64 v[92:93], v[92:93], -v[57:58]
	v_fma_f64 v[94:95], v[33:34], s[8:9], v[94:95]
	v_add_f64 v[7:8], v[5:6], -v[7:8]
	v_fma_f64 v[77:78], v[77:78], 2.0, -v[86:87]
	v_fma_f64 v[84:85], v[84:85], 2.0, -v[88:89]
	;; [unrolled: 1-line block ×3, first 2 shown]
	v_fma_f64 v[96:97], v[49:50], s[14:15], v[96:97]
	v_fma_f64 v[11:12], v[11:12], 2.0, -v[90:91]
	v_fma_f64 v[13:14], v[13:14], 2.0, -v[92:93]
	;; [unrolled: 1-line block ×5, first 2 shown]
	ds_write2_b64 v98, v[84:85], v[77:78] offset0:96 offset1:112
	ds_write2_b64 v98, v[92:93], v[90:91] offset0:160 offset1:176
	;; [unrolled: 1-line block ×6, first 2 shown]
	ds_write2_b64 v98, v[5:6], v[9:10] offset1:16
	ds_write2_b64 v98, v[88:89], v[86:87] offset0:224 offset1:240
.LBB0_23:
	s_or_b64 exec, exec, s[6:7]
	s_waitcnt lgkmcnt(0)
	s_barrier
	ds_read2st64_b64 v[3:6], v83 offset1:4
	ds_read2st64_b64 v[7:10], v83 offset0:8 offset1:12
	ds_read2st64_b64 v[11:14], v83 offset0:16 offset1:20
	s_waitcnt lgkmcnt(0)
	s_barrier
	s_and_saveexec_b64 s[6:7], s[0:1]
	s_cbranch_execz .LBB0_25
; %bb.24:
	v_mul_f64 v[1:2], v[1:2], v[41:42]
	v_fma_f64 v[23:24], v[25:26], 2.0, -v[23:24]
	v_fma_f64 v[27:28], v[27:28], 2.0, -v[53:54]
	s_mov_b32 s8, 0xa6aea964
	s_mov_b32 s9, 0x3fd87de2
	;; [unrolled: 1-line block ×5, first 2 shown]
	v_fma_f64 v[1:2], v[35:36], v[39:40], v[1:2]
	s_mov_b32 s0, 0xcf328d46
	v_fma_f64 v[39:40], v[63:64], 2.0, -v[75:76]
	s_movk_i32 s16, 0x700
	v_add_f64 v[1:2], v[17:18], -v[1:2]
	v_add_f64 v[21:22], v[1:2], v[21:22]
	v_fma_f64 v[17:18], v[17:18], 2.0, -v[1:2]
	v_fma_f64 v[1:2], v[1:2], 2.0, -v[21:22]
	v_add_f64 v[23:24], v[17:18], -v[23:24]
	v_add_f64 v[25:26], v[21:22], v[73:74]
	v_add_f64 v[35:36], v[1:2], -v[65:66]
	v_add_f64 v[41:42], v[23:24], v[45:46]
	v_add_f64 v[25:26], v[67:68], v[25:26]
	v_fma_f64 v[17:18], v[17:18], 2.0, -v[23:24]
	v_add_f64 v[35:36], v[61:62], v[35:36]
	v_fma_f64 v[23:24], v[23:24], 2.0, -v[41:42]
	v_fma_f64 v[21:22], v[21:22], 2.0, -v[25:26]
	v_add_f64 v[27:28], v[17:18], -v[27:28]
	v_add_f64 v[45:46], v[41:42], v[59:60]
	v_and_or_b32 v61, v80, s16, v79
	v_fma_f64 v[1:2], v[1:2], 2.0, -v[35:36]
	v_add_f64 v[53:54], v[23:24], -v[57:58]
	v_fma_f64 v[55:56], v[55:56], s[14:15], v[21:22]
	v_fma_f64 v[33:34], v[33:34], s[8:9], v[35:36]
	v_fma_f64 v[17:18], v[17:18], 2.0, -v[27:28]
	v_add_f64 v[37:38], v[27:28], v[37:38]
	v_add_f64 v[45:46], v[51:52], v[45:46]
	v_fma_f64 v[49:50], v[49:50], s[0:1], v[1:2]
	s_mov_b32 s1, 0x3fed906b
	v_fma_f64 v[31:32], v[31:32], s[0:1], v[25:26]
	v_add_f64 v[47:48], v[47:48], v[53:54]
	v_fma_f64 v[43:44], v[43:44], s[0:1], v[55:56]
	v_fma_f64 v[15:16], v[15:16], s[0:1], v[33:34]
	v_add_f64 v[39:40], v[17:18], -v[39:40]
	v_fma_f64 v[27:28], v[27:28], 2.0, -v[37:38]
	v_fma_f64 v[29:30], v[29:30], s[8:9], v[49:50]
	v_fma_f64 v[19:20], v[19:20], s[8:9], v[31:32]
	v_fma_f64 v[23:24], v[23:24], 2.0, -v[47:48]
	v_fma_f64 v[21:22], v[21:22], 2.0, -v[43:44]
	;; [unrolled: 1-line block ×6, first 2 shown]
	v_lshl_add_u32 v35, v61, 3, 0
	v_fma_f64 v[25:26], v[25:26], 2.0, -v[19:20]
	ds_write2_b64 v35, v[47:48], v[43:44] offset0:160 offset1:176
	ds_write2_b64 v35, v[37:38], v[15:16] offset0:192 offset1:208
	ds_write2_b64 v35, v[39:40], v[29:30] offset0:128 offset1:144
	ds_write2_b64 v35, v[23:24], v[21:22] offset0:32 offset1:48
	ds_write2_b64 v35, v[27:28], v[33:34] offset0:64 offset1:80
	ds_write2_b64 v35, v[17:18], v[1:2] offset1:16
	ds_write2_b64 v35, v[31:32], v[25:26] offset0:96 offset1:112
	ds_write2_b64 v35, v[45:46], v[19:20] offset0:224 offset1:240
.LBB0_25:
	s_or_b64 exec, exec, s[6:7]
	s_waitcnt lgkmcnt(0)
	s_barrier
	s_and_saveexec_b64 s[0:1], vcc
	s_cbranch_execz .LBB0_27
; %bb.26:
	v_mul_u32_u24_e32 v0, 5, v0
	v_lshlrev_b32_e32 v0, 4, v0
	global_load_dwordx4 v[15:18], v0, s[12:13] offset:3856
	global_load_dwordx4 v[19:22], v0, s[12:13] offset:3888
	;; [unrolled: 1-line block ×5, first 2 shown]
	v_mul_lo_u32 v2, s5, v71
	v_mul_lo_u32 v59, s4, v72
	v_mad_u64_u32 v[0:1], s[0:1], s4, v71, 0
	v_mad_u64_u32 v[47:48], s[6:7], s2, v99, 0
	v_or_b32_e32 v61, 0x100, v99
	v_or_b32_e32 v62, 0x200, v99
	v_mad_u64_u32 v[51:52], s[6:7], s2, v61, 0
	v_or_b32_e32 v63, 0x300, v99
	v_mad_u64_u32 v[53:54], s[6:7], s2, v62, 0
	v_mad_u64_u32 v[55:56], s[6:7], s2, v63, 0
	v_add3_u32 v1, v1, v59, v2
	v_mov_b32_e32 v2, v48
	v_lshlrev_b64 v[49:50], 4, v[69:70]
	v_mad_u64_u32 v[59:60], s[6:7], s3, v99, v[2:3]
	v_lshlrev_b64 v[0:1], 4, v[0:1]
	v_mov_b32_e32 v2, v52
	v_mov_b32_e32 v48, v54
	v_mad_u64_u32 v[60:61], s[6:7], s3, v61, v[2:3]
	v_mov_b32_e32 v64, s11
	v_mov_b32_e32 v52, v56
	v_mad_u64_u32 v[61:62], s[6:7], s3, v62, v[48:49]
	v_add_co_u32_e32 v0, vcc, s10, v0
	v_mad_u64_u32 v[62:63], s[6:7], s3, v63, v[52:53]
	v_addc_co_u32_e32 v1, vcc, v64, v1, vcc
	ds_read2st64_b64 v[35:38], v83 offset0:8 offset1:12
	ds_read2st64_b64 v[39:42], v83 offset0:16 offset1:20
	ds_read2st64_b64 v[43:46], v83 offset1:4
	v_add_co_u32_e32 v66, vcc, v0, v49
	v_mov_b32_e32 v48, v59
	v_addc_co_u32_e32 v67, vcc, v1, v50, vcc
	v_lshlrev_b64 v[0:1], 4, v[47:48]
	v_mov_b32_e32 v54, v61
	v_mov_b32_e32 v52, v60
	;; [unrolled: 1-line block ×3, first 2 shown]
	v_lshlrev_b64 v[49:50], 4, v[53:54]
	v_add_co_u32_e32 v53, vcc, v66, v0
	v_lshlrev_b64 v[47:48], 4, v[51:52]
	v_lshlrev_b64 v[51:52], 4, v[55:56]
	v_addc_co_u32_e32 v54, vcc, v67, v1, vcc
	s_mov_b32 s0, 0xe8584caa
	s_mov_b32 s1, 0x3febb67a
	;; [unrolled: 1-line block ×4, first 2 shown]
	v_or_b32_e32 v65, 0x400, v99
	v_mad_u64_u32 v[57:58], s[6:7], s2, v65, 0
	s_waitcnt vmcnt(4) lgkmcnt(2)
	v_mul_f64 v[0:1], v[35:36], v[17:18]
	s_waitcnt vmcnt(3) lgkmcnt(1)
	v_mul_f64 v[55:56], v[39:40], v[21:22]
	v_mul_f64 v[17:18], v[7:8], v[17:18]
	;; [unrolled: 1-line block ×3, first 2 shown]
	s_waitcnt vmcnt(1)
	v_mul_f64 v[61:62], v[37:38], v[29:30]
	s_waitcnt vmcnt(0)
	v_mul_f64 v[63:64], v[41:42], v[33:34]
	v_mul_f64 v[29:30], v[9:10], v[29:30]
	;; [unrolled: 1-line block ×3, first 2 shown]
	s_waitcnt lgkmcnt(0)
	v_mul_f64 v[59:60], v[45:46], v[25:26]
	v_mul_f64 v[25:26], v[5:6], v[25:26]
	v_fma_f64 v[0:1], v[7:8], v[15:16], -v[0:1]
	v_fma_f64 v[7:8], v[11:12], v[19:20], -v[55:56]
	v_fma_f64 v[11:12], v[15:16], v[35:36], v[17:18]
	v_fma_f64 v[15:16], v[19:20], v[39:40], v[21:22]
	v_fma_f64 v[9:10], v[9:10], v[27:28], -v[61:62]
	v_fma_f64 v[13:14], v[13:14], v[31:32], -v[63:64]
	v_fma_f64 v[17:18], v[27:28], v[37:38], v[29:30]
	v_fma_f64 v[19:20], v[31:32], v[41:42], v[33:34]
	v_fma_f64 v[5:6], v[5:6], v[23:24], -v[59:60]
	v_fma_f64 v[23:24], v[23:24], v[45:46], v[25:26]
	v_add_f64 v[25:26], v[0:1], -v[7:8]
	v_add_f64 v[27:28], v[11:12], v[15:16]
	v_add_f64 v[39:40], v[0:1], v[7:8]
	v_add_f64 v[31:32], v[9:10], v[13:14]
	v_add_f64 v[35:36], v[9:10], -v[13:14]
	v_add_f64 v[29:30], v[17:18], v[19:20]
	v_add_f64 v[33:34], v[17:18], -v[19:20]
	v_add_f64 v[17:18], v[23:24], v[17:18]
	v_add_f64 v[0:1], v[3:4], v[0:1]
	v_add_f64 v[37:38], v[11:12], v[43:44]
	v_add_f64 v[11:12], v[11:12], -v[15:16]
	v_fma_f64 v[2:3], v[39:40], -0.5, v[3:4]
	v_add_co_u32_e32 v21, vcc, v66, v47
	v_fma_f64 v[23:24], v[29:30], -0.5, v[23:24]
	v_fma_f64 v[29:30], v[31:32], -0.5, v[5:6]
	v_add_f64 v[5:6], v[5:6], v[9:10]
	v_fma_f64 v[9:10], v[27:28], -0.5, v[43:44]
	v_add_f64 v[17:18], v[17:18], v[19:20]
	v_add_f64 v[31:32], v[0:1], v[7:8]
	;; [unrolled: 1-line block ×3, first 2 shown]
	v_fma_f64 v[39:40], v[11:12], s[0:1], v[2:3]
	v_fma_f64 v[19:20], v[35:36], s[0:1], v[23:24]
	;; [unrolled: 1-line block ×7, first 2 shown]
	v_add_f64 v[4:5], v[5:6], v[13:14]
	v_fma_f64 v[37:38], v[11:12], s[4:5], v[2:3]
	v_mul_f64 v[6:7], v[19:20], -0.5
	v_mul_f64 v[8:9], v[27:28], s[4:5]
	v_mul_f64 v[35:36], v[23:24], s[0:1]
	v_mul_f64 v[13:14], v[29:30], -0.5
	v_add_f64 v[2:3], v[15:16], v[17:18]
	v_addc_co_u32_e32 v22, vcc, v67, v48, vcc
	v_add_f64 v[0:1], v[31:32], v[4:5]
	v_fma_f64 v[29:30], v[29:30], s[4:5], v[6:7]
	v_fma_f64 v[23:24], v[23:24], 0.5, v[8:9]
	v_fma_f64 v[27:28], v[27:28], 0.5, v[35:36]
	v_fma_f64 v[41:42], v[19:20], s[0:1], v[13:14]
	v_add_f64 v[6:7], v[15:16], -v[17:18]
	v_add_f64 v[4:5], v[31:32], -v[4:5]
	v_add_co_u32_e32 v35, vcc, v66, v49
	v_add_f64 v[10:11], v[33:34], v[29:30]
	v_add_f64 v[14:15], v[25:26], v[23:24]
	;; [unrolled: 1-line block ×4, first 2 shown]
	v_addc_co_u32_e32 v36, vcc, v67, v50, vcc
	global_store_dwordx4 v[53:54], v[0:3], off
	global_store_dwordx4 v[21:22], v[12:15], off
	global_store_dwordx4 v[35:36], v[8:11], off
	s_nop 0
	v_mov_b32_e32 v10, v58
	v_mad_u64_u32 v[10:11], s[0:1], s3, v65, v[10:11]
	v_or_b32_e32 v13, 0x500, v99
	v_mad_u64_u32 v[11:12], s[0:1], s2, v13, 0
	v_add_f64 v[18:19], v[25:26], -v[23:24]
	v_add_f64 v[16:17], v[39:40], -v[27:28]
	v_add_co_u32_e32 v8, vcc, v66, v51
	v_addc_co_u32_e32 v9, vcc, v67, v52, vcc
	global_store_dwordx4 v[8:9], v[4:7], off
	v_mov_b32_e32 v58, v10
	v_mov_b32_e32 v6, v12
	v_mad_u64_u32 v[6:7], s[0:1], s3, v13, v[6:7]
	v_add_f64 v[2:3], v[33:34], -v[29:30]
	v_add_f64 v[0:1], v[37:38], -v[41:42]
	v_lshlrev_b64 v[4:5], 4, v[57:58]
	v_mov_b32_e32 v12, v6
	v_add_co_u32_e32 v4, vcc, v66, v4
	v_addc_co_u32_e32 v5, vcc, v67, v5, vcc
	global_store_dwordx4 v[4:5], v[16:19], off
	v_lshlrev_b64 v[4:5], 4, v[11:12]
	v_add_co_u32_e32 v4, vcc, v66, v4
	v_addc_co_u32_e32 v5, vcc, v67, v5, vcc
	global_store_dwordx4 v[4:5], v[0:3], off
.LBB0_27:
	s_endpgm
	.section	.rodata,"a",@progbits
	.p2align	6, 0x0
	.amdhsa_kernel fft_rtc_fwd_len1536_factors_16_16_6_wgs_256_tpt_256_halfLds_dp_op_CI_CI_sbrr_dirReg
		.amdhsa_group_segment_fixed_size 0
		.amdhsa_private_segment_fixed_size 0
		.amdhsa_kernarg_size 104
		.amdhsa_user_sgpr_count 6
		.amdhsa_user_sgpr_private_segment_buffer 1
		.amdhsa_user_sgpr_dispatch_ptr 0
		.amdhsa_user_sgpr_queue_ptr 0
		.amdhsa_user_sgpr_kernarg_segment_ptr 1
		.amdhsa_user_sgpr_dispatch_id 0
		.amdhsa_user_sgpr_flat_scratch_init 0
		.amdhsa_user_sgpr_private_segment_size 0
		.amdhsa_uses_dynamic_stack 0
		.amdhsa_system_sgpr_private_segment_wavefront_offset 0
		.amdhsa_system_sgpr_workgroup_id_x 1
		.amdhsa_system_sgpr_workgroup_id_y 0
		.amdhsa_system_sgpr_workgroup_id_z 0
		.amdhsa_system_sgpr_workgroup_info 0
		.amdhsa_system_vgpr_workitem_id 0
		.amdhsa_next_free_vgpr 136
		.amdhsa_next_free_sgpr 32
		.amdhsa_reserve_vcc 1
		.amdhsa_reserve_flat_scratch 0
		.amdhsa_float_round_mode_32 0
		.amdhsa_float_round_mode_16_64 0
		.amdhsa_float_denorm_mode_32 3
		.amdhsa_float_denorm_mode_16_64 3
		.amdhsa_dx10_clamp 1
		.amdhsa_ieee_mode 1
		.amdhsa_fp16_overflow 0
		.amdhsa_exception_fp_ieee_invalid_op 0
		.amdhsa_exception_fp_denorm_src 0
		.amdhsa_exception_fp_ieee_div_zero 0
		.amdhsa_exception_fp_ieee_overflow 0
		.amdhsa_exception_fp_ieee_underflow 0
		.amdhsa_exception_fp_ieee_inexact 0
		.amdhsa_exception_int_div_zero 0
	.end_amdhsa_kernel
	.text
.Lfunc_end0:
	.size	fft_rtc_fwd_len1536_factors_16_16_6_wgs_256_tpt_256_halfLds_dp_op_CI_CI_sbrr_dirReg, .Lfunc_end0-fft_rtc_fwd_len1536_factors_16_16_6_wgs_256_tpt_256_halfLds_dp_op_CI_CI_sbrr_dirReg
                                        ; -- End function
	.section	.AMDGPU.csdata,"",@progbits
; Kernel info:
; codeLenInByte = 7580
; NumSgprs: 36
; NumVgprs: 136
; ScratchSize: 0
; MemoryBound: 1
; FloatMode: 240
; IeeeMode: 1
; LDSByteSize: 0 bytes/workgroup (compile time only)
; SGPRBlocks: 4
; VGPRBlocks: 33
; NumSGPRsForWavesPerEU: 36
; NumVGPRsForWavesPerEU: 136
; Occupancy: 1
; WaveLimiterHint : 1
; COMPUTE_PGM_RSRC2:SCRATCH_EN: 0
; COMPUTE_PGM_RSRC2:USER_SGPR: 6
; COMPUTE_PGM_RSRC2:TRAP_HANDLER: 0
; COMPUTE_PGM_RSRC2:TGID_X_EN: 1
; COMPUTE_PGM_RSRC2:TGID_Y_EN: 0
; COMPUTE_PGM_RSRC2:TGID_Z_EN: 0
; COMPUTE_PGM_RSRC2:TIDIG_COMP_CNT: 0
	.type	__hip_cuid_281b42cc23983141,@object ; @__hip_cuid_281b42cc23983141
	.section	.bss,"aw",@nobits
	.globl	__hip_cuid_281b42cc23983141
__hip_cuid_281b42cc23983141:
	.byte	0                               ; 0x0
	.size	__hip_cuid_281b42cc23983141, 1

	.ident	"AMD clang version 19.0.0git (https://github.com/RadeonOpenCompute/llvm-project roc-6.4.0 25133 c7fe45cf4b819c5991fe208aaa96edf142730f1d)"
	.section	".note.GNU-stack","",@progbits
	.addrsig
	.addrsig_sym __hip_cuid_281b42cc23983141
	.amdgpu_metadata
---
amdhsa.kernels:
  - .args:
      - .actual_access:  read_only
        .address_space:  global
        .offset:         0
        .size:           8
        .value_kind:     global_buffer
      - .offset:         8
        .size:           8
        .value_kind:     by_value
      - .actual_access:  read_only
        .address_space:  global
        .offset:         16
        .size:           8
        .value_kind:     global_buffer
      - .actual_access:  read_only
        .address_space:  global
        .offset:         24
        .size:           8
        .value_kind:     global_buffer
      - .actual_access:  read_only
        .address_space:  global
        .offset:         32
        .size:           8
        .value_kind:     global_buffer
      - .offset:         40
        .size:           8
        .value_kind:     by_value
      - .actual_access:  read_only
        .address_space:  global
        .offset:         48
        .size:           8
        .value_kind:     global_buffer
      - .actual_access:  read_only
        .address_space:  global
        .offset:         56
        .size:           8
        .value_kind:     global_buffer
      - .offset:         64
        .size:           4
        .value_kind:     by_value
      - .actual_access:  read_only
        .address_space:  global
        .offset:         72
        .size:           8
        .value_kind:     global_buffer
      - .actual_access:  read_only
        .address_space:  global
        .offset:         80
        .size:           8
        .value_kind:     global_buffer
      - .actual_access:  read_only
        .address_space:  global
        .offset:         88
        .size:           8
        .value_kind:     global_buffer
      - .actual_access:  write_only
        .address_space:  global
        .offset:         96
        .size:           8
        .value_kind:     global_buffer
    .group_segment_fixed_size: 0
    .kernarg_segment_align: 8
    .kernarg_segment_size: 104
    .language:       OpenCL C
    .language_version:
      - 2
      - 0
    .max_flat_workgroup_size: 256
    .name:           fft_rtc_fwd_len1536_factors_16_16_6_wgs_256_tpt_256_halfLds_dp_op_CI_CI_sbrr_dirReg
    .private_segment_fixed_size: 0
    .sgpr_count:     36
    .sgpr_spill_count: 0
    .symbol:         fft_rtc_fwd_len1536_factors_16_16_6_wgs_256_tpt_256_halfLds_dp_op_CI_CI_sbrr_dirReg.kd
    .uniform_work_group_size: 1
    .uses_dynamic_stack: false
    .vgpr_count:     136
    .vgpr_spill_count: 0
    .wavefront_size: 64
amdhsa.target:   amdgcn-amd-amdhsa--gfx906
amdhsa.version:
  - 1
  - 2
...

	.end_amdgpu_metadata
